;; amdgpu-corpus repo=ROCm/rocFFT kind=compiled arch=gfx1100 opt=O3
	.text
	.amdgcn_target "amdgcn-amd-amdhsa--gfx1100"
	.amdhsa_code_object_version 6
	.protected	fft_rtc_fwd_len91_factors_7_13_wgs_247_tpt_13_dp_op_CI_CI_unitstride_sbrr_dirReg ; -- Begin function fft_rtc_fwd_len91_factors_7_13_wgs_247_tpt_13_dp_op_CI_CI_unitstride_sbrr_dirReg
	.globl	fft_rtc_fwd_len91_factors_7_13_wgs_247_tpt_13_dp_op_CI_CI_unitstride_sbrr_dirReg
	.p2align	8
	.type	fft_rtc_fwd_len91_factors_7_13_wgs_247_tpt_13_dp_op_CI_CI_unitstride_sbrr_dirReg,@function
fft_rtc_fwd_len91_factors_7_13_wgs_247_tpt_13_dp_op_CI_CI_unitstride_sbrr_dirReg: ; @fft_rtc_fwd_len91_factors_7_13_wgs_247_tpt_13_dp_op_CI_CI_unitstride_sbrr_dirReg
; %bb.0:
	s_load_b128 s[8:11], s[0:1], 0x0
	v_mul_u32_u24_e32 v1, 0x13b2, v0
	s_clause 0x1
	s_load_b128 s[4:7], s[0:1], 0x58
	s_load_b128 s[16:19], s[0:1], 0x18
	v_mov_b32_e32 v4, 0
	v_lshrrev_b32_e32 v2, 16, v1
	v_mov_b32_e32 v1, 0
	s_delay_alu instid0(VALU_DEP_2) | instskip(NEXT) | instid1(VALU_DEP_2)
	v_mad_u64_u32 v[36:37], null, s15, 19, v[2:3]
	v_mov_b32_e32 v37, v1
	v_mov_b32_e32 v5, 0
	s_delay_alu instid0(VALU_DEP_2) | instskip(SKIP_2) | instid1(VALU_DEP_3)
	v_dual_mov_b32 v103, v37 :: v_dual_mov_b32 v102, v36
	s_waitcnt lgkmcnt(0)
	v_cmp_lt_u64_e64 s2, s[10:11], 2
	v_dual_mov_b32 v101, v5 :: v_dual_mov_b32 v100, v4
	s_delay_alu instid0(VALU_DEP_2)
	s_and_b32 vcc_lo, exec_lo, s2
	s_cbranch_vccnz .LBB0_8
; %bb.1:
	s_load_b64 s[2:3], s[0:1], 0x10
	v_mov_b32_e32 v4, 0
	v_dual_mov_b32 v5, 0 :: v_dual_mov_b32 v6, v36
	s_add_u32 s12, s18, 8
	s_addc_u32 s13, s19, 0
	v_mov_b32_e32 v7, v37
	s_add_u32 s14, s16, 8
	v_dual_mov_b32 v101, v5 :: v_dual_mov_b32 v100, v4
	s_addc_u32 s15, s17, 0
	s_mov_b64 s[22:23], 1
	s_waitcnt lgkmcnt(0)
	s_add_u32 s20, s2, 8
	s_addc_u32 s21, s3, 0
.LBB0_2:                                ; =>This Inner Loop Header: Depth=1
	s_load_b64 s[24:25], s[20:21], 0x0
                                        ; implicit-def: $vgpr102_vgpr103
	s_mov_b32 s2, exec_lo
	s_waitcnt lgkmcnt(0)
	v_or_b32_e32 v2, s25, v7
	s_delay_alu instid0(VALU_DEP_1)
	v_cmpx_ne_u64_e32 0, v[1:2]
	s_xor_b32 s3, exec_lo, s2
	s_cbranch_execz .LBB0_4
; %bb.3:                                ;   in Loop: Header=BB0_2 Depth=1
	v_cvt_f32_u32_e32 v2, s24
	v_cvt_f32_u32_e32 v3, s25
	s_sub_u32 s2, 0, s24
	s_subb_u32 s26, 0, s25
	s_delay_alu instid0(VALU_DEP_1) | instskip(NEXT) | instid1(VALU_DEP_1)
	v_fmac_f32_e32 v2, 0x4f800000, v3
	v_rcp_f32_e32 v2, v2
	s_waitcnt_depctr 0xfff
	v_mul_f32_e32 v2, 0x5f7ffffc, v2
	s_delay_alu instid0(VALU_DEP_1) | instskip(NEXT) | instid1(VALU_DEP_1)
	v_mul_f32_e32 v3, 0x2f800000, v2
	v_trunc_f32_e32 v3, v3
	s_delay_alu instid0(VALU_DEP_1) | instskip(SKIP_1) | instid1(VALU_DEP_2)
	v_fmac_f32_e32 v2, 0xcf800000, v3
	v_cvt_u32_f32_e32 v3, v3
	v_cvt_u32_f32_e32 v2, v2
	s_delay_alu instid0(VALU_DEP_2) | instskip(NEXT) | instid1(VALU_DEP_2)
	v_mul_lo_u32 v8, s2, v3
	v_mul_hi_u32 v9, s2, v2
	v_mul_lo_u32 v10, s26, v2
	s_delay_alu instid0(VALU_DEP_2) | instskip(SKIP_1) | instid1(VALU_DEP_2)
	v_add_nc_u32_e32 v8, v9, v8
	v_mul_lo_u32 v9, s2, v2
	v_add_nc_u32_e32 v8, v8, v10
	s_delay_alu instid0(VALU_DEP_2) | instskip(NEXT) | instid1(VALU_DEP_2)
	v_mul_hi_u32 v10, v2, v9
	v_mul_lo_u32 v11, v2, v8
	v_mul_hi_u32 v12, v2, v8
	v_mul_hi_u32 v13, v3, v9
	v_mul_lo_u32 v9, v3, v9
	v_mul_hi_u32 v14, v3, v8
	v_mul_lo_u32 v8, v3, v8
	v_add_co_u32 v10, vcc_lo, v10, v11
	v_add_co_ci_u32_e32 v11, vcc_lo, 0, v12, vcc_lo
	s_delay_alu instid0(VALU_DEP_2) | instskip(NEXT) | instid1(VALU_DEP_2)
	v_add_co_u32 v9, vcc_lo, v10, v9
	v_add_co_ci_u32_e32 v9, vcc_lo, v11, v13, vcc_lo
	v_add_co_ci_u32_e32 v10, vcc_lo, 0, v14, vcc_lo
	s_delay_alu instid0(VALU_DEP_2) | instskip(NEXT) | instid1(VALU_DEP_2)
	v_add_co_u32 v8, vcc_lo, v9, v8
	v_add_co_ci_u32_e32 v9, vcc_lo, 0, v10, vcc_lo
	s_delay_alu instid0(VALU_DEP_2) | instskip(NEXT) | instid1(VALU_DEP_2)
	v_add_co_u32 v2, vcc_lo, v2, v8
	v_add_co_ci_u32_e32 v3, vcc_lo, v3, v9, vcc_lo
	s_delay_alu instid0(VALU_DEP_2) | instskip(SKIP_1) | instid1(VALU_DEP_3)
	v_mul_hi_u32 v8, s2, v2
	v_mul_lo_u32 v10, s26, v2
	v_mul_lo_u32 v9, s2, v3
	s_delay_alu instid0(VALU_DEP_1) | instskip(SKIP_1) | instid1(VALU_DEP_2)
	v_add_nc_u32_e32 v8, v8, v9
	v_mul_lo_u32 v9, s2, v2
	v_add_nc_u32_e32 v8, v8, v10
	s_delay_alu instid0(VALU_DEP_2) | instskip(NEXT) | instid1(VALU_DEP_2)
	v_mul_hi_u32 v10, v2, v9
	v_mul_lo_u32 v11, v2, v8
	v_mul_hi_u32 v12, v2, v8
	v_mul_hi_u32 v13, v3, v9
	v_mul_lo_u32 v9, v3, v9
	v_mul_hi_u32 v14, v3, v8
	v_mul_lo_u32 v8, v3, v8
	v_add_co_u32 v10, vcc_lo, v10, v11
	v_add_co_ci_u32_e32 v11, vcc_lo, 0, v12, vcc_lo
	s_delay_alu instid0(VALU_DEP_2) | instskip(NEXT) | instid1(VALU_DEP_2)
	v_add_co_u32 v9, vcc_lo, v10, v9
	v_add_co_ci_u32_e32 v9, vcc_lo, v11, v13, vcc_lo
	v_add_co_ci_u32_e32 v10, vcc_lo, 0, v14, vcc_lo
	s_delay_alu instid0(VALU_DEP_2) | instskip(NEXT) | instid1(VALU_DEP_2)
	v_add_co_u32 v8, vcc_lo, v9, v8
	v_add_co_ci_u32_e32 v9, vcc_lo, 0, v10, vcc_lo
	s_delay_alu instid0(VALU_DEP_2) | instskip(NEXT) | instid1(VALU_DEP_2)
	v_add_co_u32 v10, vcc_lo, v2, v8
	v_add_co_ci_u32_e32 v12, vcc_lo, v3, v9, vcc_lo
	s_delay_alu instid0(VALU_DEP_2) | instskip(SKIP_1) | instid1(VALU_DEP_3)
	v_mul_hi_u32 v13, v6, v10
	v_mad_u64_u32 v[8:9], null, v7, v10, 0
	v_mad_u64_u32 v[2:3], null, v6, v12, 0
	;; [unrolled: 1-line block ×3, first 2 shown]
	s_delay_alu instid0(VALU_DEP_2) | instskip(NEXT) | instid1(VALU_DEP_3)
	v_add_co_u32 v2, vcc_lo, v13, v2
	v_add_co_ci_u32_e32 v3, vcc_lo, 0, v3, vcc_lo
	s_delay_alu instid0(VALU_DEP_2) | instskip(NEXT) | instid1(VALU_DEP_2)
	v_add_co_u32 v2, vcc_lo, v2, v8
	v_add_co_ci_u32_e32 v2, vcc_lo, v3, v9, vcc_lo
	v_add_co_ci_u32_e32 v3, vcc_lo, 0, v11, vcc_lo
	s_delay_alu instid0(VALU_DEP_2) | instskip(NEXT) | instid1(VALU_DEP_2)
	v_add_co_u32 v8, vcc_lo, v2, v10
	v_add_co_ci_u32_e32 v9, vcc_lo, 0, v3, vcc_lo
	s_delay_alu instid0(VALU_DEP_2) | instskip(SKIP_1) | instid1(VALU_DEP_3)
	v_mul_lo_u32 v10, s25, v8
	v_mad_u64_u32 v[2:3], null, s24, v8, 0
	v_mul_lo_u32 v11, s24, v9
	s_delay_alu instid0(VALU_DEP_2) | instskip(NEXT) | instid1(VALU_DEP_2)
	v_sub_co_u32 v2, vcc_lo, v6, v2
	v_add3_u32 v3, v3, v11, v10
	s_delay_alu instid0(VALU_DEP_1) | instskip(NEXT) | instid1(VALU_DEP_1)
	v_sub_nc_u32_e32 v10, v7, v3
	v_subrev_co_ci_u32_e64 v10, s2, s25, v10, vcc_lo
	v_add_co_u32 v11, s2, v8, 2
	s_delay_alu instid0(VALU_DEP_1) | instskip(SKIP_3) | instid1(VALU_DEP_3)
	v_add_co_ci_u32_e64 v12, s2, 0, v9, s2
	v_sub_co_u32 v13, s2, v2, s24
	v_sub_co_ci_u32_e32 v3, vcc_lo, v7, v3, vcc_lo
	v_subrev_co_ci_u32_e64 v10, s2, 0, v10, s2
	v_cmp_le_u32_e32 vcc_lo, s24, v13
	s_delay_alu instid0(VALU_DEP_3) | instskip(SKIP_1) | instid1(VALU_DEP_4)
	v_cmp_eq_u32_e64 s2, s25, v3
	v_cndmask_b32_e64 v13, 0, -1, vcc_lo
	v_cmp_le_u32_e32 vcc_lo, s25, v10
	v_cndmask_b32_e64 v14, 0, -1, vcc_lo
	v_cmp_le_u32_e32 vcc_lo, s24, v2
	;; [unrolled: 2-line block ×3, first 2 shown]
	v_cndmask_b32_e64 v15, 0, -1, vcc_lo
	v_cmp_eq_u32_e32 vcc_lo, s25, v10
	s_delay_alu instid0(VALU_DEP_2) | instskip(SKIP_3) | instid1(VALU_DEP_3)
	v_cndmask_b32_e64 v2, v15, v2, s2
	v_cndmask_b32_e32 v10, v14, v13, vcc_lo
	v_add_co_u32 v13, vcc_lo, v8, 1
	v_add_co_ci_u32_e32 v14, vcc_lo, 0, v9, vcc_lo
	v_cmp_ne_u32_e32 vcc_lo, 0, v10
	s_delay_alu instid0(VALU_DEP_2) | instskip(SKIP_1) | instid1(VALU_DEP_2)
	v_dual_cndmask_b32 v3, v14, v12 :: v_dual_cndmask_b32 v10, v13, v11
	v_cmp_ne_u32_e32 vcc_lo, 0, v2
	v_dual_cndmask_b32 v103, v9, v3 :: v_dual_cndmask_b32 v102, v8, v10
.LBB0_4:                                ;   in Loop: Header=BB0_2 Depth=1
	s_and_not1_saveexec_b32 s2, s3
	s_cbranch_execz .LBB0_6
; %bb.5:                                ;   in Loop: Header=BB0_2 Depth=1
	v_cvt_f32_u32_e32 v2, s24
	s_sub_i32 s3, 0, s24
	v_mov_b32_e32 v103, v1
	s_delay_alu instid0(VALU_DEP_2) | instskip(SKIP_2) | instid1(VALU_DEP_1)
	v_rcp_iflag_f32_e32 v2, v2
	s_waitcnt_depctr 0xfff
	v_mul_f32_e32 v2, 0x4f7ffffe, v2
	v_cvt_u32_f32_e32 v2, v2
	s_delay_alu instid0(VALU_DEP_1) | instskip(NEXT) | instid1(VALU_DEP_1)
	v_mul_lo_u32 v3, s3, v2
	v_mul_hi_u32 v3, v2, v3
	s_delay_alu instid0(VALU_DEP_1) | instskip(NEXT) | instid1(VALU_DEP_1)
	v_add_nc_u32_e32 v2, v2, v3
	v_mul_hi_u32 v2, v6, v2
	s_delay_alu instid0(VALU_DEP_1) | instskip(SKIP_1) | instid1(VALU_DEP_2)
	v_mul_lo_u32 v3, v2, s24
	v_add_nc_u32_e32 v8, 1, v2
	v_sub_nc_u32_e32 v3, v6, v3
	s_delay_alu instid0(VALU_DEP_1) | instskip(SKIP_1) | instid1(VALU_DEP_2)
	v_subrev_nc_u32_e32 v9, s24, v3
	v_cmp_le_u32_e32 vcc_lo, s24, v3
	v_dual_cndmask_b32 v3, v3, v9 :: v_dual_cndmask_b32 v2, v2, v8
	s_delay_alu instid0(VALU_DEP_1) | instskip(NEXT) | instid1(VALU_DEP_2)
	v_cmp_le_u32_e32 vcc_lo, s24, v3
	v_add_nc_u32_e32 v8, 1, v2
	s_delay_alu instid0(VALU_DEP_1)
	v_cndmask_b32_e32 v102, v2, v8, vcc_lo
.LBB0_6:                                ;   in Loop: Header=BB0_2 Depth=1
	s_or_b32 exec_lo, exec_lo, s2
	s_delay_alu instid0(VALU_DEP_1) | instskip(NEXT) | instid1(VALU_DEP_2)
	v_mul_lo_u32 v8, v103, s24
	v_mul_lo_u32 v9, v102, s25
	s_load_b64 s[2:3], s[14:15], 0x0
	v_mad_u64_u32 v[2:3], null, v102, s24, 0
	s_load_b64 s[24:25], s[12:13], 0x0
	s_add_u32 s22, s22, 1
	s_addc_u32 s23, s23, 0
	s_add_u32 s12, s12, 8
	s_addc_u32 s13, s13, 0
	s_add_u32 s14, s14, 8
	s_delay_alu instid0(VALU_DEP_1) | instskip(SKIP_3) | instid1(VALU_DEP_2)
	v_add3_u32 v3, v3, v9, v8
	v_sub_co_u32 v8, vcc_lo, v6, v2
	s_addc_u32 s15, s15, 0
	s_add_u32 s20, s20, 8
	v_sub_co_ci_u32_e32 v6, vcc_lo, v7, v3, vcc_lo
	s_addc_u32 s21, s21, 0
	s_waitcnt lgkmcnt(0)
	s_delay_alu instid0(VALU_DEP_1)
	v_mul_lo_u32 v9, s2, v6
	v_mul_lo_u32 v10, s3, v8
	v_mad_u64_u32 v[2:3], null, s2, v8, v[4:5]
	v_mul_lo_u32 v11, s24, v6
	v_mul_lo_u32 v12, s25, v8
	v_mad_u64_u32 v[6:7], null, s24, v8, v[100:101]
	v_cmp_ge_u64_e64 s2, s[22:23], s[10:11]
	v_add3_u32 v5, v10, v3, v9
	v_mov_b32_e32 v4, v2
	s_delay_alu instid0(VALU_DEP_4)
	v_add3_u32 v101, v12, v7, v11
	v_mov_b32_e32 v100, v6
	s_and_b32 vcc_lo, exec_lo, s2
	s_cbranch_vccnz .LBB0_8
; %bb.7:                                ;   in Loop: Header=BB0_2 Depth=1
	v_dual_mov_b32 v6, v102 :: v_dual_mov_b32 v7, v103
	s_branch .LBB0_2
.LBB0_8:
	s_load_b64 s[0:1], s[0:1], 0x28
	v_mul_hi_u32 v1, 0x13b13b14, v0
	s_lshl_b64 s[10:11], s[10:11], 3
                                        ; implicit-def: $vgpr104
	s_delay_alu instid0(SALU_CYCLE_1) | instskip(SKIP_4) | instid1(VALU_DEP_1)
	s_add_u32 s2, s18, s10
	s_addc_u32 s3, s19, s11
	s_waitcnt lgkmcnt(0)
	v_cmp_gt_u64_e32 vcc_lo, s[0:1], v[102:103]
	v_cmp_le_u64_e64 s0, s[0:1], v[102:103]
	s_and_saveexec_b32 s1, s0
	s_delay_alu instid0(SALU_CYCLE_1)
	s_xor_b32 s0, exec_lo, s1
; %bb.9:
	v_mul_u32_u24_e32 v1, 13, v1
                                        ; implicit-def: $vgpr4_vgpr5
	s_delay_alu instid0(VALU_DEP_1)
	v_sub_nc_u32_e32 v104, v0, v1
                                        ; implicit-def: $vgpr1
                                        ; implicit-def: $vgpr0
; %bb.10:
	s_or_saveexec_b32 s1, s0
                                        ; implicit-def: $vgpr26_vgpr27
                                        ; implicit-def: $vgpr22_vgpr23
                                        ; implicit-def: $vgpr18_vgpr19
                                        ; implicit-def: $vgpr14_vgpr15
                                        ; implicit-def: $vgpr10_vgpr11
                                        ; implicit-def: $vgpr6_vgpr7
                                        ; implicit-def: $vgpr2_vgpr3
	s_delay_alu instid0(SALU_CYCLE_1)
	s_xor_b32 exec_lo, exec_lo, s1
	s_cbranch_execz .LBB0_12
; %bb.11:
	s_add_u32 s10, s16, s10
	s_addc_u32 s11, s17, s11
	s_load_b64 s[10:11], s[10:11], 0x0
	s_waitcnt lgkmcnt(0)
	v_mul_lo_u32 v6, s11, v102
	v_mul_lo_u32 v7, s10, v103
	v_mad_u64_u32 v[2:3], null, s10, v102, 0
	s_delay_alu instid0(VALU_DEP_1) | instskip(SKIP_1) | instid1(VALU_DEP_2)
	v_add3_u32 v3, v3, v7, v6
	v_mul_u32_u24_e32 v6, 13, v1
	v_lshlrev_b64 v[1:2], 4, v[2:3]
	v_lshlrev_b64 v[3:4], 4, v[4:5]
	s_delay_alu instid0(VALU_DEP_3) | instskip(NEXT) | instid1(VALU_DEP_3)
	v_sub_nc_u32_e32 v104, v0, v6
	v_add_co_u32 v0, s0, s4, v1
	s_delay_alu instid0(VALU_DEP_1) | instskip(NEXT) | instid1(VALU_DEP_3)
	v_add_co_ci_u32_e64 v1, s0, s5, v2, s0
	v_lshlrev_b32_e32 v2, 4, v104
	s_delay_alu instid0(VALU_DEP_3) | instskip(NEXT) | instid1(VALU_DEP_1)
	v_add_co_u32 v0, s0, v0, v3
	v_add_co_ci_u32_e64 v1, s0, v1, v4, s0
	s_delay_alu instid0(VALU_DEP_2) | instskip(NEXT) | instid1(VALU_DEP_1)
	v_add_co_u32 v24, s0, v0, v2
	v_add_co_ci_u32_e64 v25, s0, 0, v1, s0
	s_clause 0x6
	global_load_b128 v[0:3], v[24:25], off
	global_load_b128 v[4:7], v[24:25], off offset:208
	global_load_b128 v[8:11], v[24:25], off offset:416
	;; [unrolled: 1-line block ×6, first 2 shown]
.LBB0_12:
	s_or_b32 exec_lo, exec_lo, s1
	s_waitcnt vmcnt(0)
	v_add_f64 v[28:29], v[24:25], v[4:5]
	v_add_f64 v[30:31], v[26:27], v[6:7]
	;; [unrolled: 1-line block ×6, first 2 shown]
	v_add_f64 v[8:9], v[8:9], -v[20:21]
	v_add_f64 v[10:11], v[10:11], -v[22:23]
	;; [unrolled: 1-line block ×6, first 2 shown]
	s_mov_b32 s0, 0x37e14327
	s_mov_b32 s1, 0x3fe948f6
	;; [unrolled: 1-line block ×10, first 2 shown]
	s_load_b64 s[2:3], s[2:3], 0x0
                                        ; implicit-def: $vgpr50_vgpr51
	v_add_f64 v[16:17], v[32:33], v[28:29]
	v_add_f64 v[18:19], v[34:35], v[30:31]
	v_add_f64 v[20:21], v[28:29], -v[37:38]
	v_add_f64 v[22:23], v[30:31], -v[39:40]
	;; [unrolled: 1-line block ×10, first 2 shown]
	v_add_f64 v[8:9], v[12:13], v[8:9]
	v_add_f64 v[10:11], v[14:15], v[10:11]
	v_add_f64 v[12:13], v[4:5], -v[12:13]
	v_add_f64 v[14:15], v[6:7], -v[14:15]
	v_add_f64 v[16:17], v[37:38], v[16:17]
	v_add_f64 v[18:19], v[39:40], v[18:19]
	v_mul_f64 v[20:21], v[20:21], s[0:1]
	v_mul_f64 v[22:23], v[22:23], s[0:1]
	s_mov_b32 s0, 0x429ad128
	v_mul_f64 v[32:33], v[24:25], s[4:5]
	v_mul_f64 v[34:35], v[26:27], s[4:5]
	;; [unrolled: 1-line block ×4, first 2 shown]
	s_mov_b32 s1, 0x3febfeb5
	s_mov_b32 s10, 0xaaaaaaaa
	v_mul_f64 v[41:42], v[45:46], s[0:1]
	v_mul_f64 v[43:44], v[47:48], s[0:1]
	s_mov_b32 s11, 0xbff2aaaa
	v_add_f64 v[4:5], v[8:9], v[4:5]
	v_add_f64 v[6:7], v[10:11], v[6:7]
	;; [unrolled: 1-line block ×4, first 2 shown]
	v_fma_f64 v[8:9], v[24:25], s[4:5], v[20:21]
	v_fma_f64 v[10:11], v[26:27], s[4:5], v[22:23]
	v_fma_f64 v[24:25], v[28:29], s[12:13], -v[32:33]
	v_fma_f64 v[26:27], v[30:31], s[12:13], -v[34:35]
	s_mov_b32 s13, 0xbfe77f67
	v_fma_f64 v[32:33], v[12:13], s[14:15], v[37:38]
	v_fma_f64 v[34:35], v[14:15], s[14:15], v[39:40]
	s_mov_b32 s15, 0xbfd5d0dc
	v_fma_f64 v[37:38], v[45:46], s[0:1], -v[37:38]
	v_fma_f64 v[39:40], v[47:48], s[0:1], -v[39:40]
	v_fma_f64 v[12:13], v[12:13], s[14:15], -v[41:42]
	v_fma_f64 v[14:15], v[14:15], s[14:15], -v[43:44]
	v_fma_f64 v[20:21], v[28:29], s[12:13], -v[20:21]
	v_fma_f64 v[22:23], v[30:31], s[12:13], -v[22:23]
	s_mov_b32 s0, 0x37c3f68c
	s_mov_b32 s1, 0x3fdc38aa
                                        ; implicit-def: $vgpr46_vgpr47
	v_fma_f64 v[16:17], v[16:17], s[10:11], v[0:1]
	v_fma_f64 v[18:19], v[18:19], s[10:11], v[2:3]
	;; [unrolled: 1-line block ×8, first 2 shown]
	v_mul_hi_u32 v4, 0xaf286bcb, v36
	v_cmp_gt_u32_e64 s0, 7, v104
                                        ; implicit-def: $vgpr38_vgpr39
	s_delay_alu instid0(VALU_DEP_2) | instskip(NEXT) | instid1(VALU_DEP_1)
	v_sub_nc_u32_e32 v5, v36, v4
	v_lshrrev_b32_e32 v5, 1, v5
	s_delay_alu instid0(VALU_DEP_1)
	v_add_nc_u32_e32 v37, v5, v4
	v_add_f64 v[8:9], v[8:9], v[16:17]
	v_add_f64 v[10:11], v[10:11], v[18:19]
	v_add_f64 v[20:21], v[20:21], v[16:17]
	v_add_f64 v[22:23], v[22:23], v[18:19]
	v_add_f64 v[32:33], v[24:25], v[16:17]
	v_add_f64 v[34:35], v[26:27], v[18:19]
	v_add_f64 v[16:17], v[43:44], v[8:9]
	v_add_f64 v[18:19], v[10:11], -v[41:42]
	v_add_f64 v[4:5], v[14:15], v[20:21]
	v_add_f64 v[6:7], v[22:23], -v[12:13]
	v_add_f64 v[24:25], v[32:33], -v[28:29]
	v_add_f64 v[26:27], v[30:31], v[34:35]
	v_add_f64 v[28:29], v[28:29], v[32:33]
	v_add_f64 v[30:31], v[34:35], -v[30:31]
	v_add_f64 v[32:33], v[20:21], -v[14:15]
	v_add_f64 v[34:35], v[12:13], v[22:23]
	v_add_f64 v[8:9], v[8:9], -v[43:44]
	v_add_f64 v[10:11], v[41:42], v[10:11]
	v_lshrrev_b32_e32 v12, 4, v37
                                        ; implicit-def: $vgpr22_vgpr23
                                        ; implicit-def: $vgpr42_vgpr43
	s_delay_alu instid0(VALU_DEP_1) | instskip(NEXT) | instid1(VALU_DEP_1)
	v_mul_lo_u32 v12, v12, 19
	v_sub_nc_u32_e32 v13, v36, v12
	v_mad_u32_u24 v12, 0x70, v104, 0
	s_delay_alu instid0(VALU_DEP_2) | instskip(NEXT) | instid1(VALU_DEP_1)
	v_mul_u32_u24_e32 v13, 0x5b, v13
	v_lshl_add_u32 v14, v13, 4, v12
	ds_store_b128 v14, v[0:3]
	ds_store_b128 v14, v[16:19] offset:16
	ds_store_b128 v14, v[4:7] offset:32
	ds_store_b128 v14, v[24:27] offset:48
	ds_store_b128 v14, v[28:31] offset:64
	ds_store_b128 v14, v[32:35] offset:80
	ds_store_b128 v14, v[8:11] offset:96
	s_waitcnt lgkmcnt(0)
	s_barrier
	buffer_gl0_inv
                                        ; implicit-def: $vgpr14_vgpr15
	s_and_saveexec_b32 s1, s0
	s_cbranch_execz .LBB0_14
; %bb.13:
	v_lshlrev_b32_e32 v0, 4, v13
	v_lshlrev_b32_e32 v1, 4, v104
	v_mul_i32_i24_e32 v2, 0xffffffa0, v104
	s_delay_alu instid0(VALU_DEP_2) | instskip(NEXT) | instid1(VALU_DEP_2)
	v_add3_u32 v1, 0, v0, v1
	v_add3_u32 v48, v12, v2, v0
	ds_load_b128 v[0:3], v1
	ds_load_b128 v[16:19], v48 offset:112
	ds_load_b128 v[4:7], v48 offset:224
	;; [unrolled: 1-line block ×12, first 2 shown]
.LBB0_14:
	s_or_b32 exec_lo, exec_lo, s1
	v_cmp_gt_u32_e64 s1, 7, v104
	s_delay_alu instid0(VALU_DEP_1) | instskip(NEXT) | instid1(SALU_CYCLE_1)
	s_and_b32 s1, vcc_lo, s1
	s_and_saveexec_b32 s4, s1
	s_cbranch_execz .LBB0_16
; %bb.15:
	v_dual_mov_b32 v255, 0 :: v_dual_add_nc_u32 v52, -7, v104
	s_mov_b32 s16, 0x66966769
	s_mov_b32 s14, 0xb2365da1
	;; [unrolled: 1-line block ×3, first 2 shown]
	s_delay_alu instid0(VALU_DEP_1)
	v_cndmask_b32_e64 v52, v52, v104, s0
	s_mov_b32 s0, 0xebaa3ed8
	s_mov_b32 s12, 0x1ea71119
	;; [unrolled: 1-line block ×4, first 2 shown]
	v_mul_i32_i24_e32 v254, 12, v52
	s_mov_b32 s22, 0x4bc48dbf
	s_mov_b32 s1, 0x3fbedb7d
	;; [unrolled: 1-line block ×4, first 2 shown]
	v_lshlrev_b64 v[52:53], 4, v[254:255]
	s_mov_b32 s5, 0xbfef11f4
	s_mov_b32 s13, 0x3fe22d96
	;; [unrolled: 1-line block ×5, first 2 shown]
	v_add_co_u32 v52, vcc_lo, s8, v52
	v_add_co_ci_u32_e32 v53, vcc_lo, s9, v53, vcc_lo
	s_mov_b32 s8, 0xd0032e0c
	s_mov_b32 s9, 0xbfe7f3cc
	;; [unrolled: 1-line block ×3, first 2 shown]
	s_clause 0xb
	global_load_b128 v[80:83], v[52:53], off
	global_load_b128 v[84:87], v[52:53], off offset:176
	global_load_b128 v[72:75], v[52:53], off offset:64
	;; [unrolled: 1-line block ×11, first 2 shown]
	s_mov_b32 s25, 0xbfcea1e5
	s_mov_b32 s38, s18
	;; [unrolled: 1-line block ×17, first 2 shown]
	s_waitcnt vmcnt(11) lgkmcnt(11)
	v_mul_f64 v[107:108], v[18:19], v[80:81]
	v_mul_f64 v[123:124], v[18:19], v[82:83]
	s_waitcnt vmcnt(9) lgkmcnt(7)
	v_mul_f64 v[111:112], v[34:35], v[72:73]
	s_waitcnt vmcnt(8)
	v_mul_f64 v[113:114], v[30:31], v[76:77]
	s_waitcnt lgkmcnt(0)
	v_mul_f64 v[109:110], v[50:51], v[84:85]
	s_waitcnt vmcnt(7)
	v_mul_f64 v[115:116], v[26:27], v[68:69]
	s_waitcnt vmcnt(6)
	;; [unrolled: 2-line block ×3, first 2 shown]
	v_mul_f64 v[119:120], v[42:43], v[92:93]
	v_mul_f64 v[50:51], v[50:51], v[86:87]
	;; [unrolled: 1-line block ×4, first 2 shown]
	s_waitcnt vmcnt(3)
	v_mul_f64 v[129:130], v[6:7], v[64:65]
	s_waitcnt vmcnt(2)
	v_mul_f64 v[131:132], v[22:23], v[60:61]
	v_mul_f64 v[133:134], v[26:27], v[70:71]
	v_mul_f64 v[135:136], v[46:47], v[98:99]
	v_mul_f64 v[137:138], v[42:43], v[94:95]
	v_mul_f64 v[141:142], v[6:7], v[66:67]
	v_mul_f64 v[143:144], v[22:23], v[62:63]
	v_mul_f64 v[121:122], v[38:39], v[88:89]
	v_mul_f64 v[139:140], v[38:39], v[90:91]
	v_fma_f64 v[82:83], v[16:17], v[82:83], v[107:108]
	v_fma_f64 v[80:81], v[16:17], v[80:81], -v[123:124]
	v_fma_f64 v[30:31], v[32:33], v[74:75], v[111:112]
	v_fma_f64 v[34:35], v[28:29], v[78:79], v[113:114]
	s_waitcnt vmcnt(1)
	v_mul_f64 v[74:75], v[10:11], v[58:59]
	s_waitcnt vmcnt(0)
	v_mul_f64 v[78:79], v[14:15], v[52:53]
	v_fma_f64 v[6:7], v[48:49], v[86:87], v[109:110]
	v_fma_f64 v[42:43], v[24:25], v[70:71], v[115:116]
	;; [unrolled: 1-line block ×4, first 2 shown]
	v_mul_f64 v[70:71], v[10:11], v[56:57]
	v_mul_f64 v[86:87], v[14:15], v[54:55]
	v_fma_f64 v[84:85], v[48:49], v[84:85], -v[50:51]
	v_fma_f64 v[48:49], v[4:5], v[66:67], v[129:130]
	v_fma_f64 v[105:106], v[20:21], v[62:63], v[131:132]
	v_fma_f64 v[46:47], v[24:25], v[68:69], -v[133:134]
	v_fma_f64 v[16:17], v[44:45], v[96:97], -v[135:136]
	;; [unrolled: 1-line block ×5, first 2 shown]
	v_fma_f64 v[26:27], v[36:37], v[90:91], v[121:122]
	v_fma_f64 v[38:39], v[28:29], v[76:77], -v[127:128]
	v_fma_f64 v[28:29], v[36:37], v[88:89], -v[139:140]
	;; [unrolled: 1-line block ×4, first 2 shown]
	v_fma_f64 v[40:41], v[12:13], v[54:55], v[78:79]
	v_add_f64 v[54:55], v[2:3], v[82:83]
	v_add_f64 v[56:57], v[0:1], v[80:81]
	;; [unrolled: 1-line block ×3, first 2 shown]
	v_add_f64 v[60:61], v[82:83], -v[6:7]
	v_fma_f64 v[36:37], v[8:9], v[58:59], v[70:71]
	v_add_f64 v[62:63], v[42:43], v[18:19]
	v_fma_f64 v[10:11], v[12:13], v[52:53], -v[86:87]
	v_add_f64 v[12:13], v[80:81], -v[84:85]
	v_add_f64 v[58:59], v[48:49], v[105:106]
	v_add_f64 v[76:77], v[48:49], -v[105:106]
	v_add_f64 v[52:53], v[80:81], v[84:85]
	v_add_f64 v[80:81], v[42:43], -v[18:19]
	s_clause 0x1
	scratch_store_b64 off, v[6:7], off
	scratch_store_b64 off, v[84:85], off offset:8
	v_add_f64 v[74:75], v[44:45], -v[14:15]
	v_add_f64 v[78:79], v[44:45], v[14:15]
	v_add_f64 v[64:65], v[34:35], v[22:23]
	;; [unrolled: 1-line block ×3, first 2 shown]
	v_add_f64 v[70:71], v[38:39], -v[24:25]
	v_add_f64 v[84:85], v[34:35], -v[22:23]
	v_add_f64 v[86:87], v[38:39], v[24:25]
	v_add_f64 v[68:69], v[46:47], -v[16:17]
	v_add_f64 v[72:73], v[32:33], -v[28:29]
	v_add_f64 v[82:83], v[46:47], v[16:17]
	v_add_f64 v[48:49], v[48:49], v[54:55]
	;; [unrolled: 1-line block ×3, first 2 shown]
	v_mul_f64 v[88:89], v[50:51], s[4:5]
	v_mul_f64 v[90:91], v[50:51], s[8:9]
	;; [unrolled: 1-line block ×36, first 2 shown]
	v_add_f64 v[42:43], v[42:43], v[48:49]
	v_add_f64 v[44:45], v[46:47], v[44:45]
	v_mul_f64 v[54:55], v[76:77], s[26:27]
	v_mul_f64 v[155:156], v[76:77], s[30:31]
	;; [unrolled: 1-line block ×3, first 2 shown]
	v_fma_f64 v[181:182], v[12:13], s[22:23], v[88:89]
	v_fma_f64 v[88:89], v[12:13], s[24:25], v[88:89]
	;; [unrolled: 1-line block ×13, first 2 shown]
	v_fma_f64 v[98:99], v[52:53], s[4:5], -v[98:99]
	v_fma_f64 v[195:196], v[52:53], s[14:15], v[109:110]
	v_fma_f64 v[109:110], v[52:53], s[14:15], -v[109:110]
	v_fma_f64 v[197:198], v[52:53], s[0:1], v[111:112]
	v_mul_f64 v[56:57], v[76:77], s[40:41]
	v_mul_f64 v[159:160], v[76:77], s[38:39]
	;; [unrolled: 1-line block ×3, first 2 shown]
	v_fma_f64 v[193:194], v[52:53], s[8:9], v[107:108]
	v_fma_f64 v[107:108], v[52:53], s[8:9], -v[107:108]
	v_fma_f64 v[111:112], v[52:53], s[0:1], -v[111:112]
	v_fma_f64 v[199:200], v[52:53], s[12:13], v[113:114]
	v_fma_f64 v[113:114], v[52:53], s[12:13], -v[113:114]
	v_fma_f64 v[201:202], v[52:53], s[10:11], v[60:61]
	v_fma_f64 v[52:53], v[52:53], s[10:11], -v[60:61]
	v_mul_f64 v[161:162], v[80:81], s[28:29]
	v_mul_f64 v[165:166], v[80:81], s[26:27]
	;; [unrolled: 1-line block ×3, first 2 shown]
	v_fma_f64 v[60:61], v[68:69], s[30:31], v[115:116]
	v_fma_f64 v[203:204], v[70:71], s[34:35], v[117:118]
	;; [unrolled: 1-line block ×3, first 2 shown]
	v_add_f64 v[34:35], v[34:35], v[42:43]
	v_add_f64 v[38:39], v[38:39], v[44:45]
	v_fma_f64 v[115:116], v[68:69], s[28:29], v[115:116]
	v_fma_f64 v[117:118], v[70:71], s[36:37], v[117:118]
	;; [unrolled: 1-line block ×36, first 2 shown]
	v_add_f64 v[34:35], v[30:31], v[34:35]
	v_add_f64 v[38:39], v[32:33], v[38:39]
	v_fma_f64 v[147:148], v[74:75], s[40:41], v[147:148]
	v_fma_f64 v[231:232], v[74:75], s[28:29], v[149:150]
	v_fma_f64 v[149:150], v[74:75], s[30:31], v[149:150]
	v_fma_f64 v[233:234], v[74:75], s[22:23], v[151:152]
	v_fma_f64 v[151:152], v[74:75], s[24:25], v[151:152]
	v_fma_f64 v[235:236], v[74:75], s[18:19], v[153:154]
	v_fma_f64 v[153:154], v[74:75], s[38:39], v[153:154]
	v_fma_f64 v[237:238], v[74:75], s[36:37], v[58:59]
	v_fma_f64 v[58:59], v[74:75], s[34:35], v[58:59]
	v_fma_f64 v[74:75], v[78:79], s[10:11], v[54:55]
	v_fma_f64 v[54:55], v[78:79], s[10:11], -v[54:55]
	v_fma_f64 v[241:242], v[78:79], s[8:9], v[155:156]
	v_fma_f64 v[155:156], v[78:79], s[8:9], -v[155:156]
	v_fma_f64 v[243:244], v[78:79], s[4:5], v[157:158]
	v_add_f64 v[50:51], v[0:1], v[50:51]
	v_add_f64 v[88:89], v[2:3], v[88:89]
	;; [unrolled: 1-line block ×9, first 2 shown]
	v_mul_f64 v[163:164], v[80:81], s[34:35]
	v_mul_f64 v[169:170], v[80:81], s[24:25]
	;; [unrolled: 1-line block ×3, first 2 shown]
	v_fma_f64 v[239:240], v[78:79], s[0:1], v[56:57]
	v_fma_f64 v[56:57], v[78:79], s[0:1], -v[56:57]
	v_fma_f64 v[247:248], v[78:79], s[12:13], v[76:77]
	v_fma_f64 v[76:77], v[78:79], s[12:13], -v[76:77]
	v_add_f64 v[193:194], v[0:1], v[193:194]
	v_add_f64 v[107:108], v[0:1], v[107:108]
	;; [unrolled: 1-line block ×10, first 2 shown]
	v_mul_f64 v[171:172], v[84:85], s[36:37]
	v_mul_f64 v[173:174], v[84:85], s[22:23]
	;; [unrolled: 1-line block ×6, first 2 shown]
	v_fma_f64 v[157:158], v[78:79], s[4:5], -v[157:158]
	v_fma_f64 v[245:246], v[78:79], s[14:15], v[159:160]
	v_fma_f64 v[159:160], v[78:79], s[14:15], -v[159:160]
	v_fma_f64 v[78:79], v[82:83], s[8:9], v[161:162]
	;; [unrolled: 2-line block ×4, first 2 shown]
	v_add_f64 v[181:182], v[2:3], v[181:182]
	v_add_f64 v[183:184], v[2:3], v[183:184]
	;; [unrolled: 1-line block ×10, first 2 shown]
	v_add_f64 v[30:31], v[30:31], -v[26:27]
	v_add_f64 v[88:89], v[36:37], v[40:41]
	v_add_f64 v[36:37], v[36:37], -v[40:41]
	v_add_f64 v[90:91], v[147:148], v[90:91]
	v_add_f64 v[92:93], v[149:150], v[92:93]
	;; [unrolled: 1-line block ×6, first 2 shown]
	v_fma_f64 v[249:250], v[82:83], s[12:13], v[163:164]
	v_add_f64 v[34:35], v[40:41], v[34:35]
	v_add_f64 v[40:41], v[20:21], -v[10:11]
	v_add_f64 v[20:21], v[20:21], v[10:11]
	v_add_f64 v[10:11], v[10:11], v[38:39]
	v_fma_f64 v[163:164], v[82:83], s[12:13], -v[163:164]
	v_fma_f64 v[12:13], v[82:83], s[4:5], v[169:170]
	v_fma_f64 v[52:53], v[82:83], s[4:5], -v[169:170]
	v_fma_f64 v[169:170], v[82:83], s[0:1], v[80:81]
	v_fma_f64 v[80:81], v[82:83], s[0:1], -v[80:81]
	v_add_f64 v[56:57], v[56:57], v[107:108]
	v_add_f64 v[0:1], v[76:77], v[0:1]
	v_fma_f64 v[167:168], v[82:83], s[14:15], -v[167:168]
	v_fma_f64 v[82:83], v[86:87], s[12:13], v[171:172]
	v_fma_f64 v[171:172], v[86:87], s[12:13], -v[171:172]
	v_fma_f64 v[251:252], v[86:87], s[4:5], v[173:174]
	v_fma_f64 v[173:174], v[86:87], s[4:5], -v[173:174]
	v_fma_f64 v[253:254], v[86:87], s[0:1], v[175:176]
	v_fma_f64 v[175:176], v[86:87], s[0:1], -v[175:176]
	v_fma_f64 v[4:5], v[86:87], s[10:11], v[177:178]
	v_fma_f64 v[177:178], v[86:87], s[10:11], -v[177:178]
	v_fma_f64 v[6:7], v[86:87], s[8:9], v[179:180]
	v_fma_f64 v[179:180], v[86:87], s[8:9], -v[179:180]
	v_fma_f64 v[8:9], v[86:87], s[14:15], v[84:85]
	v_fma_f64 v[84:85], v[86:87], s[14:15], -v[84:85]
	v_add_f64 v[68:69], v[68:69], v[181:182]
	v_add_f64 v[86:87], v[229:230], v[183:184]
	;; [unrolled: 1-line block ×4, first 2 shown]
	v_mul_f64 v[38:39], v[30:31], s[38:39]
	v_mul_f64 v[145:146], v[30:31], s[26:27]
	;; [unrolled: 1-line block ×4, first 2 shown]
	v_add_f64 v[181:182], v[231:232], v[185:186]
	v_mul_f64 v[183:184], v[30:31], s[40:41]
	v_mul_f64 v[30:31], v[30:31], s[28:29]
	v_add_f64 v[187:188], v[233:234], v[187:188]
	v_add_f64 v[111:112], v[157:158], v[111:112]
	;; [unrolled: 1-line block ×19, first 2 shown]
	v_mul_f64 v[193:194], v[88:89], s[0:1]
	v_mul_f64 v[149:150], v[36:37], s[40:41]
	;; [unrolled: 1-line block ×7, first 2 shown]
	v_add_f64 v[113:114], v[159:160], v[113:114]
	v_mul_f64 v[159:160], v[88:89], s[10:11]
	v_mul_f64 v[88:89], v[88:89], s[4:5]
	;; [unrolled: 1-line block ×5, first 2 shown]
	v_add_f64 v[26:27], v[26:27], v[34:35]
	v_fma_f64 v[34:35], v[32:33], s[14:15], v[38:39]
	v_fma_f64 v[38:39], v[32:33], s[14:15], -v[38:39]
	v_fma_f64 v[58:59], v[32:33], s[10:11], v[145:146]
	v_fma_f64 v[76:77], v[32:33], s[10:11], -v[145:146]
	;; [unrolled: 2-line block ×6, first 2 shown]
	v_add_f64 v[32:33], v[60:61], v[68:69]
	v_add_f64 v[60:61], v[115:116], v[74:75]
	;; [unrolled: 1-line block ×23, first 2 shown]
	v_fma_f64 v[28:29], v[20:21], s[0:1], v[149:150]
	v_fma_f64 v[62:63], v[40:41], s[40:41], v[193:194]
	v_add_f64 v[22:23], v[22:23], v[26:27]
	v_fma_f64 v[26:27], v[40:41], s[16:17], v[193:194]
	v_fma_f64 v[80:81], v[20:21], s[0:1], -v[149:150]
	v_fma_f64 v[109:110], v[40:41], s[18:19], v[155:156]
	v_fma_f64 v[111:112], v[20:21], s[14:15], v[195:196]
	;; [unrolled: 1-line block ×3, first 2 shown]
	v_fma_f64 v[115:116], v[20:21], s[14:15], -v[195:196]
	v_fma_f64 v[121:122], v[40:41], s[34:35], v[229:230]
	v_fma_f64 v[127:128], v[20:21], s[12:13], v[151:152]
	;; [unrolled: 1-line block ×4, first 2 shown]
	v_add_f64 v[78:79], v[123:124], v[78:79]
	v_fma_f64 v[84:85], v[40:41], s[20:21], v[159:160]
	v_fma_f64 v[94:95], v[40:41], s[22:23], v[88:89]
	v_add_f64 v[60:61], v[117:118], v[60:61]
	v_fma_f64 v[88:89], v[40:41], s[24:25], v[88:89]
	v_fma_f64 v[117:118], v[20:21], s[10:11], v[231:232]
	v_add_f64 v[82:83], v[215:216], v[86:87]
	v_add_f64 v[86:87], v[177:178], v[92:93]
	;; [unrolled: 1-line block ×7, first 2 shown]
	v_fma_f64 v[48:49], v[40:41], s[28:29], v[153:154]
	v_add_f64 v[8:9], v[8:9], v[24:25]
	v_fma_f64 v[92:93], v[40:41], s[26:27], v[159:160]
	v_fma_f64 v[40:41], v[20:21], s[12:13], -v[151:152]
	v_fma_f64 v[96:97], v[20:21], s[8:9], v[157:158]
	v_fma_f64 v[98:99], v[20:21], s[8:9], -v[157:158]
	v_fma_f64 v[123:124], v[20:21], s[10:11], -v[231:232]
	v_fma_f64 v[129:130], v[20:21], s[4:5], v[36:37]
	v_fma_f64 v[137:138], v[20:21], s[4:5], -v[36:37]
	v_add_f64 v[20:21], v[34:35], v[50:51]
	v_add_f64 v[24:25], v[38:39], v[54:55]
	;; [unrolled: 1-line block ×8, first 2 shown]
	v_mul_lo_u32 v0, s3, v102
	v_mul_lo_u32 v1, s2, v103
	v_mad_u64_u32 v[76:77], null, s2, v102, 0
	v_add_f64 v[74:75], v[251:252], v[74:75]
	v_add_f64 v[18:19], v[18:19], v[22:23]
	;; [unrolled: 1-line block ×6, first 2 shown]
	v_add3_u32 v77, v77, v1, v0
	v_add_f64 v[10:11], v[16:17], v[10:11]
	v_add_f64 v[22:23], v[119:120], v[60:61]
	;; [unrolled: 1-line block ×13, first 2 shown]
	scratch_load_b64 v[4:5], off, off       ; 8-byte Folded Reload
	v_add_f64 v[20:21], v[115:116], v[38:39]
	v_add_f64 v[34:35], v[58:59], v[74:75]
	;; [unrolled: 1-line block ×14, first 2 shown]
	v_mov_b32_e32 v105, v255
	v_add_f64 v[38:39], v[92:93], v[58:59]
	v_add_f64 v[42:43], v[145:146], v[42:43]
	;; [unrolled: 1-line block ×17, first 2 shown]
	s_waitcnt vmcnt(0)
	v_add_f64 v[54:55], v[4:5], v[72:73]
	scratch_load_b64 v[4:5], off, off offset:8 ; 8-byte Folded Reload
	s_waitcnt vmcnt(0)
	v_add_f64 v[52:53], v[4:5], v[10:11]
	v_lshlrev_b64 v[4:5], 4, v[76:77]
	v_lshlrev_b64 v[10:11], 4, v[100:101]
	s_delay_alu instid0(VALU_DEP_2) | instskip(NEXT) | instid1(VALU_DEP_3)
	v_add_co_u32 v56, vcc_lo, s6, v4
	v_add_co_ci_u32_e32 v57, vcc_lo, s7, v5, vcc_lo
	v_lshlrev_b64 v[4:5], 4, v[104:105]
	s_delay_alu instid0(VALU_DEP_3) | instskip(NEXT) | instid1(VALU_DEP_3)
	v_add_co_u32 v10, vcc_lo, v56, v10
	v_add_co_ci_u32_e32 v11, vcc_lo, v57, v11, vcc_lo
	s_delay_alu instid0(VALU_DEP_2) | instskip(NEXT) | instid1(VALU_DEP_2)
	v_add_co_u32 v4, vcc_lo, v10, v4
	v_add_co_ci_u32_e32 v5, vcc_lo, v11, v5, vcc_lo
	s_clause 0xc
	global_store_b128 v[4:5], v[36:39], off offset:224
	global_store_b128 v[4:5], v[32:35], off offset:336
	;; [unrolled: 1-line block ×11, first 2 shown]
	global_store_b128 v[4:5], v[52:55], off
	global_store_b128 v[4:5], v[6:9], off offset:1344
.LBB0_16:
	s_endpgm
	.section	.rodata,"a",@progbits
	.p2align	6, 0x0
	.amdhsa_kernel fft_rtc_fwd_len91_factors_7_13_wgs_247_tpt_13_dp_op_CI_CI_unitstride_sbrr_dirReg
		.amdhsa_group_segment_fixed_size 0
		.amdhsa_private_segment_fixed_size 20
		.amdhsa_kernarg_size 104
		.amdhsa_user_sgpr_count 15
		.amdhsa_user_sgpr_dispatch_ptr 0
		.amdhsa_user_sgpr_queue_ptr 0
		.amdhsa_user_sgpr_kernarg_segment_ptr 1
		.amdhsa_user_sgpr_dispatch_id 0
		.amdhsa_user_sgpr_private_segment_size 0
		.amdhsa_wavefront_size32 1
		.amdhsa_uses_dynamic_stack 0
		.amdhsa_enable_private_segment 1
		.amdhsa_system_sgpr_workgroup_id_x 1
		.amdhsa_system_sgpr_workgroup_id_y 0
		.amdhsa_system_sgpr_workgroup_id_z 0
		.amdhsa_system_sgpr_workgroup_info 0
		.amdhsa_system_vgpr_workitem_id 0
		.amdhsa_next_free_vgpr 256
		.amdhsa_next_free_sgpr 42
		.amdhsa_reserve_vcc 1
		.amdhsa_float_round_mode_32 0
		.amdhsa_float_round_mode_16_64 0
		.amdhsa_float_denorm_mode_32 3
		.amdhsa_float_denorm_mode_16_64 3
		.amdhsa_dx10_clamp 1
		.amdhsa_ieee_mode 1
		.amdhsa_fp16_overflow 0
		.amdhsa_workgroup_processor_mode 1
		.amdhsa_memory_ordered 1
		.amdhsa_forward_progress 0
		.amdhsa_shared_vgpr_count 0
		.amdhsa_exception_fp_ieee_invalid_op 0
		.amdhsa_exception_fp_denorm_src 0
		.amdhsa_exception_fp_ieee_div_zero 0
		.amdhsa_exception_fp_ieee_overflow 0
		.amdhsa_exception_fp_ieee_underflow 0
		.amdhsa_exception_fp_ieee_inexact 0
		.amdhsa_exception_int_div_zero 0
	.end_amdhsa_kernel
	.text
.Lfunc_end0:
	.size	fft_rtc_fwd_len91_factors_7_13_wgs_247_tpt_13_dp_op_CI_CI_unitstride_sbrr_dirReg, .Lfunc_end0-fft_rtc_fwd_len91_factors_7_13_wgs_247_tpt_13_dp_op_CI_CI_unitstride_sbrr_dirReg
                                        ; -- End function
	.section	.AMDGPU.csdata,"",@progbits
; Kernel info:
; codeLenInByte = 7108
; NumSgprs: 44
; NumVgprs: 256
; ScratchSize: 20
; MemoryBound: 1
; FloatMode: 240
; IeeeMode: 1
; LDSByteSize: 0 bytes/workgroup (compile time only)
; SGPRBlocks: 5
; VGPRBlocks: 31
; NumSGPRsForWavesPerEU: 44
; NumVGPRsForWavesPerEU: 256
; Occupancy: 5
; WaveLimiterHint : 1
; COMPUTE_PGM_RSRC2:SCRATCH_EN: 1
; COMPUTE_PGM_RSRC2:USER_SGPR: 15
; COMPUTE_PGM_RSRC2:TRAP_HANDLER: 0
; COMPUTE_PGM_RSRC2:TGID_X_EN: 1
; COMPUTE_PGM_RSRC2:TGID_Y_EN: 0
; COMPUTE_PGM_RSRC2:TGID_Z_EN: 0
; COMPUTE_PGM_RSRC2:TIDIG_COMP_CNT: 0
	.text
	.p2alignl 7, 3214868480
	.fill 96, 4, 3214868480
	.type	__hip_cuid_87639ebc4e85f0c3,@object ; @__hip_cuid_87639ebc4e85f0c3
	.section	.bss,"aw",@nobits
	.globl	__hip_cuid_87639ebc4e85f0c3
__hip_cuid_87639ebc4e85f0c3:
	.byte	0                               ; 0x0
	.size	__hip_cuid_87639ebc4e85f0c3, 1

	.ident	"AMD clang version 19.0.0git (https://github.com/RadeonOpenCompute/llvm-project roc-6.4.0 25133 c7fe45cf4b819c5991fe208aaa96edf142730f1d)"
	.section	".note.GNU-stack","",@progbits
	.addrsig
	.addrsig_sym __hip_cuid_87639ebc4e85f0c3
	.amdgpu_metadata
---
amdhsa.kernels:
  - .args:
      - .actual_access:  read_only
        .address_space:  global
        .offset:         0
        .size:           8
        .value_kind:     global_buffer
      - .offset:         8
        .size:           8
        .value_kind:     by_value
      - .actual_access:  read_only
        .address_space:  global
        .offset:         16
        .size:           8
        .value_kind:     global_buffer
      - .actual_access:  read_only
        .address_space:  global
        .offset:         24
        .size:           8
        .value_kind:     global_buffer
      - .actual_access:  read_only
        .address_space:  global
        .offset:         32
        .size:           8
        .value_kind:     global_buffer
      - .offset:         40
        .size:           8
        .value_kind:     by_value
      - .actual_access:  read_only
        .address_space:  global
        .offset:         48
        .size:           8
        .value_kind:     global_buffer
      - .actual_access:  read_only
        .address_space:  global
        .offset:         56
        .size:           8
        .value_kind:     global_buffer
      - .offset:         64
        .size:           4
        .value_kind:     by_value
      - .actual_access:  read_only
        .address_space:  global
        .offset:         72
        .size:           8
        .value_kind:     global_buffer
      - .actual_access:  read_only
        .address_space:  global
        .offset:         80
        .size:           8
        .value_kind:     global_buffer
      - .actual_access:  read_only
        .address_space:  global
        .offset:         88
        .size:           8
        .value_kind:     global_buffer
      - .actual_access:  write_only
        .address_space:  global
        .offset:         96
        .size:           8
        .value_kind:     global_buffer
    .group_segment_fixed_size: 0
    .kernarg_segment_align: 8
    .kernarg_segment_size: 104
    .language:       OpenCL C
    .language_version:
      - 2
      - 0
    .max_flat_workgroup_size: 247
    .name:           fft_rtc_fwd_len91_factors_7_13_wgs_247_tpt_13_dp_op_CI_CI_unitstride_sbrr_dirReg
    .private_segment_fixed_size: 20
    .sgpr_count:     44
    .sgpr_spill_count: 0
    .symbol:         fft_rtc_fwd_len91_factors_7_13_wgs_247_tpt_13_dp_op_CI_CI_unitstride_sbrr_dirReg.kd
    .uniform_work_group_size: 1
    .uses_dynamic_stack: false
    .vgpr_count:     256
    .vgpr_spill_count: 4
    .wavefront_size: 32
    .workgroup_processor_mode: 1
amdhsa.target:   amdgcn-amd-amdhsa--gfx1100
amdhsa.version:
  - 1
  - 2
...

	.end_amdgpu_metadata
